;; amdgpu-corpus repo=zjin-lcf/HeCBench kind=compiled arch=gfx906 opt=O3
	.amdgcn_target "amdgcn-amd-amdhsa--gfx906"
	.amdhsa_code_object_version 6
	.section	.text._Z11dot_productIiLi1EEvPKT_S2_PS0_m,"axG",@progbits,_Z11dot_productIiLi1EEvPKT_S2_PS0_m,comdat
	.protected	_Z11dot_productIiLi1EEvPKT_S2_PS0_m ; -- Begin function _Z11dot_productIiLi1EEvPKT_S2_PS0_m
	.globl	_Z11dot_productIiLi1EEvPKT_S2_PS0_m
	.p2align	8
	.type	_Z11dot_productIiLi1EEvPKT_S2_PS0_m,@function
_Z11dot_productIiLi1EEvPKT_S2_PS0_m:    ; @_Z11dot_productIiLi1EEvPKT_S2_PS0_m
; %bb.0:
	s_load_dword s7, s[4:5], 0x2c
	s_load_dwordx4 s[0:3], s[4:5], 0x10
	s_add_u32 s14, s4, 32
	s_addc_u32 s15, s5, 0
	v_mov_b32_e32 v1, 0
	s_waitcnt lgkmcnt(0)
	s_and_b32 s16, s7, 0xffff
	v_mov_b32_e32 v2, s6
	v_mad_u64_u32 v[2:3], s[8:9], s16, v2, v[0:1]
	s_mov_b32 s7, 0
	v_cmp_gt_u64_e32 vcc, s[2:3], v[2:3]
	s_and_saveexec_b64 s[12:13], vcc
	s_cbranch_execz .LBB0_4
; %bb.1:
	s_load_dword s17, s[14:15], 0x0
	s_load_dwordx4 s[8:11], s[4:5], 0x0
	s_mov_b32 s5, s7
	v_lshlrev_b64 v[4:5], 4, v[2:3]
	v_mov_b32_e32 v1, 0
	s_waitcnt lgkmcnt(0)
	s_mul_i32 s4, s17, s16
	s_lshl_b64 s[16:17], s[4:5], 4
	s_mov_b64 s[14:15], 0
	v_mov_b32_e32 v6, s9
	v_mov_b32_e32 v7, s11
	s_mov_b32 s5, 0xc0c0602
	s_mov_b32 s9, 0x6020c0c
	;; [unrolled: 1-line block ×8, first 2 shown]
	v_mov_b32_e32 v8, s17
.LBB0_2:                                ; =>This Inner Loop Header: Depth=1
	v_add_co_u32_e32 v17, vcc, s8, v4
	v_addc_co_u32_e32 v18, vcc, v6, v5, vcc
	v_add_co_u32_e32 v19, vcc, s10, v4
	v_addc_co_u32_e32 v20, vcc, v7, v5, vcc
	global_load_dwordx4 v[9:12], v[17:18], off
	global_load_dwordx4 v[13:16], v[19:20], off
	v_add_co_u32_e32 v2, vcc, s4, v2
	v_addc_co_u32_e32 v3, vcc, 0, v3, vcc
	v_add_co_u32_e32 v4, vcc, s16, v4
	v_addc_co_u32_e32 v5, vcc, v5, v8, vcc
	v_cmp_le_u64_e32 vcc, s[2:3], v[2:3]
	s_or_b64 s[14:15], vcc, s[14:15]
	s_waitcnt vmcnt(1)
	v_perm_b32 v17, v9, v10, s5
	v_perm_b32 v18, v12, v11, s9
	v_or_b32_e32 v17, v18, v17
	s_waitcnt vmcnt(0)
	v_perm_b32 v18, v13, v14, s5
	v_perm_b32 v19, v16, v15, s9
	v_or_b32_e32 v18, v19, v18
	v_dot4_i32_i8 v17, v18, v17, 0
	v_perm_b32 v18, v9, v10, s11
	v_perm_b32 v19, v12, v11, s18
	v_or_b32_e32 v18, v19, v18
	v_perm_b32 v19, v13, v14, s11
	v_perm_b32 v20, v16, v15, s18
	v_or_b32_e32 v19, v20, v19
	v_dot4_i32_i8 v18, v19, v18, 0
	v_perm_b32 v19, v9, v10, s19
	v_perm_b32 v20, v12, v11, s20
	;; [unrolled: 1-line block ×4, first 2 shown]
	v_or_b32_e32 v19, v20, v19
	v_perm_b32 v20, v13, v14, s19
	v_perm_b32 v21, v16, v15, s20
	v_or_b32_e32 v9, v10, v9
	v_perm_b32 v10, v13, v14, s21
	v_perm_b32 v11, v16, v15, s22
	v_or_b32_e32 v20, v21, v20
	v_or_b32_e32 v10, v11, v10
	v_dot4_i32_i8 v19, v20, v19, 0
	v_dot4_i32_i8 v9, v10, v9, 0
	v_add_u32_e32 v9, v9, v19
	v_add_u32_e32 v10, v18, v17
	v_add3_u32 v1, v10, v9, v1
	s_andn2_b64 exec, exec, s[14:15]
	s_cbranch_execnz .LBB0_2
; %bb.3:
	s_or_b64 exec, exec, s[14:15]
.LBB0_4:
	s_or_b64 exec, exec, s[12:13]
	v_add_u32_dpp v1, v1, v1 quad_perm:[1,0,3,2] row_mask:0xf bank_mask:0xf bound_ctrl:1
	v_mbcnt_lo_u32_b32 v2, -1, 0
	v_mbcnt_hi_u32_b32 v2, -1, v2
	v_add_u32_dpp v1, v1, v1 quad_perm:[2,3,0,1] row_mask:0xf bank_mask:0xf bound_ctrl:1
	v_cmp_eq_u32_e32 vcc, 0, v2
	s_nop 0
	v_add_u32_dpp v1, v1, v1 row_ror:4 row_mask:0xf bank_mask:0xf bound_ctrl:1
	s_nop 1
	v_add_u32_dpp v1, v1, v1 row_ror:8 row_mask:0xf bank_mask:0xf bound_ctrl:1
	s_nop 1
	v_add_u32_dpp v1, v1, v1 row_bcast:15 row_mask:0xf bank_mask:0xf bound_ctrl:1
	s_nop 1
	v_add_u32_dpp v3, v1, v1 row_bcast:31 row_mask:0xf bank_mask:0xf bound_ctrl:1
	v_lshlrev_b32_e32 v1, 2, v2
	v_or_b32_e32 v4, 0xfc, v1
	ds_bpermute_b32 v3, v4, v3
	s_and_saveexec_b64 s[2:3], vcc
	s_cbranch_execz .LBB0_6
; %bb.5:
	v_lshrrev_b32_e32 v4, 4, v0
	v_and_b32_e32 v4, 60, v4
	s_waitcnt lgkmcnt(0)
	ds_write_b32 v4, v3
.LBB0_6:
	s_or_b64 exec, exec, s[2:3]
	v_cmp_gt_u32_e32 vcc, 64, v0
	s_waitcnt lgkmcnt(0)
	s_barrier
	s_and_saveexec_b64 s[2:3], vcc
	s_cbranch_execnz .LBB0_9
; %bb.7:
	s_or_b64 exec, exec, s[2:3]
	v_cmp_eq_u32_e32 vcc, 0, v0
	s_and_saveexec_b64 s[2:3], vcc
	s_cbranch_execnz .LBB0_10
.LBB0_8:
	s_endpgm
.LBB0_9:
	v_and_b32_e32 v3, 15, v2
	v_lshlrev_b32_e32 v4, 2, v3
	ds_read_b32 v4, v4
	v_cmp_ne_u32_e32 vcc, 15, v3
	v_addc_co_u32_e32 v5, vcc, 0, v2, vcc
	v_lshlrev_b32_e32 v5, 2, v5
	s_waitcnt lgkmcnt(0)
	ds_bpermute_b32 v5, v5, v4
	v_cmp_gt_u32_e32 vcc, 14, v3
	v_cndmask_b32_e64 v6, 0, 2, vcc
	v_add_lshl_u32 v6, v6, v2, 2
	v_cmp_gt_u32_e32 vcc, 12, v3
	s_waitcnt lgkmcnt(0)
	v_add_u32_e32 v4, v5, v4
	ds_bpermute_b32 v5, v6, v4
	v_cndmask_b32_e64 v3, 0, 4, vcc
	v_add_lshl_u32 v2, v3, v2, 2
	v_or_b32_e32 v1, 32, v1
	s_waitcnt lgkmcnt(0)
	v_add_u32_e32 v3, v5, v4
	ds_bpermute_b32 v2, v2, v3
	s_waitcnt lgkmcnt(0)
	v_add_u32_e32 v2, v2, v3
	ds_bpermute_b32 v1, v1, v2
	s_waitcnt lgkmcnt(0)
	v_add_u32_e32 v3, v1, v2
	s_or_b64 exec, exec, s[2:3]
	v_cmp_eq_u32_e32 vcc, 0, v0
	s_and_saveexec_b64 s[2:3], vcc
	s_cbranch_execz .LBB0_8
.LBB0_10:
	s_lshl_b64 s[2:3], s[6:7], 2
	s_add_u32 s0, s0, s2
	s_addc_u32 s1, s1, s3
	v_mov_b32_e32 v0, 0
	global_store_dword v0, v3, s[0:1]
	s_endpgm
	.section	.rodata,"a",@progbits
	.p2align	6, 0x0
	.amdhsa_kernel _Z11dot_productIiLi1EEvPKT_S2_PS0_m
		.amdhsa_group_segment_fixed_size 64
		.amdhsa_private_segment_fixed_size 0
		.amdhsa_kernarg_size 288
		.amdhsa_user_sgpr_count 6
		.amdhsa_user_sgpr_private_segment_buffer 1
		.amdhsa_user_sgpr_dispatch_ptr 0
		.amdhsa_user_sgpr_queue_ptr 0
		.amdhsa_user_sgpr_kernarg_segment_ptr 1
		.amdhsa_user_sgpr_dispatch_id 0
		.amdhsa_user_sgpr_flat_scratch_init 0
		.amdhsa_user_sgpr_private_segment_size 0
		.amdhsa_uses_dynamic_stack 0
		.amdhsa_system_sgpr_private_segment_wavefront_offset 0
		.amdhsa_system_sgpr_workgroup_id_x 1
		.amdhsa_system_sgpr_workgroup_id_y 0
		.amdhsa_system_sgpr_workgroup_id_z 0
		.amdhsa_system_sgpr_workgroup_info 0
		.amdhsa_system_vgpr_workitem_id 0
		.amdhsa_next_free_vgpr 22
		.amdhsa_next_free_sgpr 23
		.amdhsa_reserve_vcc 1
		.amdhsa_reserve_flat_scratch 0
		.amdhsa_float_round_mode_32 0
		.amdhsa_float_round_mode_16_64 0
		.amdhsa_float_denorm_mode_32 3
		.amdhsa_float_denorm_mode_16_64 3
		.amdhsa_dx10_clamp 1
		.amdhsa_ieee_mode 1
		.amdhsa_fp16_overflow 0
		.amdhsa_exception_fp_ieee_invalid_op 0
		.amdhsa_exception_fp_denorm_src 0
		.amdhsa_exception_fp_ieee_div_zero 0
		.amdhsa_exception_fp_ieee_overflow 0
		.amdhsa_exception_fp_ieee_underflow 0
		.amdhsa_exception_fp_ieee_inexact 0
		.amdhsa_exception_int_div_zero 0
	.end_amdhsa_kernel
	.section	.text._Z11dot_productIiLi1EEvPKT_S2_PS0_m,"axG",@progbits,_Z11dot_productIiLi1EEvPKT_S2_PS0_m,comdat
.Lfunc_end0:
	.size	_Z11dot_productIiLi1EEvPKT_S2_PS0_m, .Lfunc_end0-_Z11dot_productIiLi1EEvPKT_S2_PS0_m
                                        ; -- End function
	.set _Z11dot_productIiLi1EEvPKT_S2_PS0_m.num_vgpr, 22
	.set _Z11dot_productIiLi1EEvPKT_S2_PS0_m.num_agpr, 0
	.set _Z11dot_productIiLi1EEvPKT_S2_PS0_m.numbered_sgpr, 23
	.set _Z11dot_productIiLi1EEvPKT_S2_PS0_m.num_named_barrier, 0
	.set _Z11dot_productIiLi1EEvPKT_S2_PS0_m.private_seg_size, 0
	.set _Z11dot_productIiLi1EEvPKT_S2_PS0_m.uses_vcc, 1
	.set _Z11dot_productIiLi1EEvPKT_S2_PS0_m.uses_flat_scratch, 0
	.set _Z11dot_productIiLi1EEvPKT_S2_PS0_m.has_dyn_sized_stack, 0
	.set _Z11dot_productIiLi1EEvPKT_S2_PS0_m.has_recursion, 0
	.set _Z11dot_productIiLi1EEvPKT_S2_PS0_m.has_indirect_call, 0
	.section	.AMDGPU.csdata,"",@progbits
; Kernel info:
; codeLenInByte = 840
; TotalNumSgprs: 27
; NumVgprs: 22
; ScratchSize: 0
; MemoryBound: 0
; FloatMode: 240
; IeeeMode: 1
; LDSByteSize: 64 bytes/workgroup (compile time only)
; SGPRBlocks: 3
; VGPRBlocks: 5
; NumSGPRsForWavesPerEU: 27
; NumVGPRsForWavesPerEU: 22
; Occupancy: 10
; WaveLimiterHint : 0
; COMPUTE_PGM_RSRC2:SCRATCH_EN: 0
; COMPUTE_PGM_RSRC2:USER_SGPR: 6
; COMPUTE_PGM_RSRC2:TRAP_HANDLER: 0
; COMPUTE_PGM_RSRC2:TGID_X_EN: 1
; COMPUTE_PGM_RSRC2:TGID_Y_EN: 0
; COMPUTE_PGM_RSRC2:TGID_Z_EN: 0
; COMPUTE_PGM_RSRC2:TIDIG_COMP_CNT: 0
	.section	.text._Z12dot_product2IiLi1EEvPKT_S2_PS0_m,"axG",@progbits,_Z12dot_product2IiLi1EEvPKT_S2_PS0_m,comdat
	.protected	_Z12dot_product2IiLi1EEvPKT_S2_PS0_m ; -- Begin function _Z12dot_product2IiLi1EEvPKT_S2_PS0_m
	.globl	_Z12dot_product2IiLi1EEvPKT_S2_PS0_m
	.p2align	8
	.type	_Z12dot_product2IiLi1EEvPKT_S2_PS0_m,@function
_Z12dot_product2IiLi1EEvPKT_S2_PS0_m:   ; @_Z12dot_product2IiLi1EEvPKT_S2_PS0_m
; %bb.0:
	s_load_dword s7, s[4:5], 0x2c
	s_load_dwordx4 s[0:3], s[4:5], 0x10
	s_add_u32 s14, s4, 32
	s_addc_u32 s15, s5, 0
	v_mov_b32_e32 v1, 0
	s_waitcnt lgkmcnt(0)
	s_and_b32 s16, s7, 0xffff
	v_mov_b32_e32 v2, s6
	v_mad_u64_u32 v[2:3], s[8:9], s16, v2, v[0:1]
	s_mov_b32 s7, 0
	v_cmp_gt_u64_e32 vcc, s[2:3], v[2:3]
	s_and_saveexec_b64 s[12:13], vcc
	s_cbranch_execz .LBB1_4
; %bb.1:
	s_load_dword s17, s[14:15], 0x0
	s_load_dwordx4 s[8:11], s[4:5], 0x0
	s_mov_b32 s5, s7
	v_lshlrev_b64 v[4:5], 4, v[2:3]
	v_mov_b32_e32 v1, 0
	s_waitcnt lgkmcnt(0)
	s_mul_i32 s4, s17, s16
	s_lshl_b64 s[16:17], s[4:5], 4
	s_mov_b64 s[14:15], 0
	v_mov_b32_e32 v6, s9
	v_mov_b32_e32 v7, s11
	;; [unrolled: 1-line block ×3, first 2 shown]
.LBB1_2:                                ; =>This Inner Loop Header: Depth=1
	v_add_co_u32_e32 v17, vcc, s8, v4
	v_addc_co_u32_e32 v18, vcc, v6, v5, vcc
	v_add_co_u32_e32 v19, vcc, s10, v4
	v_addc_co_u32_e32 v20, vcc, v7, v5, vcc
	global_load_dwordx4 v[9:12], v[17:18], off
	global_load_dwordx4 v[13:16], v[19:20], off
	v_add_co_u32_e32 v2, vcc, s4, v2
	v_addc_co_u32_e32 v3, vcc, 0, v3, vcc
	v_add_co_u32_e32 v4, vcc, s16, v4
	v_addc_co_u32_e32 v5, vcc, v5, v8, vcc
	v_cmp_le_u64_e32 vcc, s[2:3], v[2:3]
	s_or_b64 s[14:15], vcc, s[14:15]
	s_waitcnt vmcnt(0)
	v_dot4_i32_i8 v1, v9, v13, v1
	v_dot4_i32_i8 v1, v10, v14, v1
	;; [unrolled: 1-line block ×4, first 2 shown]
	s_andn2_b64 exec, exec, s[14:15]
	s_cbranch_execnz .LBB1_2
; %bb.3:
	s_or_b64 exec, exec, s[14:15]
.LBB1_4:
	s_or_b64 exec, exec, s[12:13]
	v_add_u32_dpp v1, v1, v1 quad_perm:[1,0,3,2] row_mask:0xf bank_mask:0xf bound_ctrl:1
	v_mbcnt_lo_u32_b32 v2, -1, 0
	v_mbcnt_hi_u32_b32 v2, -1, v2
	v_add_u32_dpp v1, v1, v1 quad_perm:[2,3,0,1] row_mask:0xf bank_mask:0xf bound_ctrl:1
	v_cmp_eq_u32_e32 vcc, 0, v2
	s_nop 0
	v_add_u32_dpp v1, v1, v1 row_ror:4 row_mask:0xf bank_mask:0xf bound_ctrl:1
	s_nop 1
	v_add_u32_dpp v1, v1, v1 row_ror:8 row_mask:0xf bank_mask:0xf bound_ctrl:1
	s_nop 1
	v_add_u32_dpp v1, v1, v1 row_bcast:15 row_mask:0xf bank_mask:0xf bound_ctrl:1
	s_nop 1
	v_add_u32_dpp v3, v1, v1 row_bcast:31 row_mask:0xf bank_mask:0xf bound_ctrl:1
	v_lshlrev_b32_e32 v1, 2, v2
	v_or_b32_e32 v4, 0xfc, v1
	ds_bpermute_b32 v3, v4, v3
	s_and_saveexec_b64 s[2:3], vcc
	s_cbranch_execz .LBB1_6
; %bb.5:
	v_lshrrev_b32_e32 v4, 4, v0
	v_and_b32_e32 v4, 60, v4
	s_waitcnt lgkmcnt(0)
	ds_write_b32 v4, v3
.LBB1_6:
	s_or_b64 exec, exec, s[2:3]
	v_cmp_gt_u32_e32 vcc, 64, v0
	s_waitcnt lgkmcnt(0)
	s_barrier
	s_and_saveexec_b64 s[2:3], vcc
	s_cbranch_execnz .LBB1_9
; %bb.7:
	s_or_b64 exec, exec, s[2:3]
	v_cmp_eq_u32_e32 vcc, 0, v0
	s_and_saveexec_b64 s[2:3], vcc
	s_cbranch_execnz .LBB1_10
.LBB1_8:
	s_endpgm
.LBB1_9:
	v_and_b32_e32 v3, 15, v2
	v_lshlrev_b32_e32 v4, 2, v3
	ds_read_b32 v4, v4
	v_cmp_ne_u32_e32 vcc, 15, v3
	v_addc_co_u32_e32 v5, vcc, 0, v2, vcc
	v_lshlrev_b32_e32 v5, 2, v5
	s_waitcnt lgkmcnt(0)
	ds_bpermute_b32 v5, v5, v4
	v_cmp_gt_u32_e32 vcc, 14, v3
	v_cndmask_b32_e64 v6, 0, 2, vcc
	v_add_lshl_u32 v6, v6, v2, 2
	v_cmp_gt_u32_e32 vcc, 12, v3
	s_waitcnt lgkmcnt(0)
	v_add_u32_e32 v4, v5, v4
	ds_bpermute_b32 v5, v6, v4
	v_cndmask_b32_e64 v3, 0, 4, vcc
	v_add_lshl_u32 v2, v3, v2, 2
	v_or_b32_e32 v1, 32, v1
	s_waitcnt lgkmcnt(0)
	v_add_u32_e32 v3, v5, v4
	ds_bpermute_b32 v2, v2, v3
	s_waitcnt lgkmcnt(0)
	v_add_u32_e32 v2, v2, v3
	ds_bpermute_b32 v1, v1, v2
	s_waitcnt lgkmcnt(0)
	v_add_u32_e32 v3, v1, v2
	s_or_b64 exec, exec, s[2:3]
	v_cmp_eq_u32_e32 vcc, 0, v0
	s_and_saveexec_b64 s[2:3], vcc
	s_cbranch_execz .LBB1_8
.LBB1_10:
	s_lshl_b64 s[2:3], s[6:7], 2
	s_add_u32 s0, s0, s2
	s_addc_u32 s1, s1, s3
	v_mov_b32_e32 v0, 0
	global_store_dword v0, v3, s[0:1]
	s_endpgm
	.section	.rodata,"a",@progbits
	.p2align	6, 0x0
	.amdhsa_kernel _Z12dot_product2IiLi1EEvPKT_S2_PS0_m
		.amdhsa_group_segment_fixed_size 64
		.amdhsa_private_segment_fixed_size 0
		.amdhsa_kernarg_size 288
		.amdhsa_user_sgpr_count 6
		.amdhsa_user_sgpr_private_segment_buffer 1
		.amdhsa_user_sgpr_dispatch_ptr 0
		.amdhsa_user_sgpr_queue_ptr 0
		.amdhsa_user_sgpr_kernarg_segment_ptr 1
		.amdhsa_user_sgpr_dispatch_id 0
		.amdhsa_user_sgpr_flat_scratch_init 0
		.amdhsa_user_sgpr_private_segment_size 0
		.amdhsa_uses_dynamic_stack 0
		.amdhsa_system_sgpr_private_segment_wavefront_offset 0
		.amdhsa_system_sgpr_workgroup_id_x 1
		.amdhsa_system_sgpr_workgroup_id_y 0
		.amdhsa_system_sgpr_workgroup_id_z 0
		.amdhsa_system_sgpr_workgroup_info 0
		.amdhsa_system_vgpr_workitem_id 0
		.amdhsa_next_free_vgpr 21
		.amdhsa_next_free_sgpr 18
		.amdhsa_reserve_vcc 1
		.amdhsa_reserve_flat_scratch 0
		.amdhsa_float_round_mode_32 0
		.amdhsa_float_round_mode_16_64 0
		.amdhsa_float_denorm_mode_32 3
		.amdhsa_float_denorm_mode_16_64 3
		.amdhsa_dx10_clamp 1
		.amdhsa_ieee_mode 1
		.amdhsa_fp16_overflow 0
		.amdhsa_exception_fp_ieee_invalid_op 0
		.amdhsa_exception_fp_denorm_src 0
		.amdhsa_exception_fp_ieee_div_zero 0
		.amdhsa_exception_fp_ieee_overflow 0
		.amdhsa_exception_fp_ieee_underflow 0
		.amdhsa_exception_fp_ieee_inexact 0
		.amdhsa_exception_int_div_zero 0
	.end_amdhsa_kernel
	.section	.text._Z12dot_product2IiLi1EEvPKT_S2_PS0_m,"axG",@progbits,_Z12dot_product2IiLi1EEvPKT_S2_PS0_m,comdat
.Lfunc_end1:
	.size	_Z12dot_product2IiLi1EEvPKT_S2_PS0_m, .Lfunc_end1-_Z12dot_product2IiLi1EEvPKT_S2_PS0_m
                                        ; -- End function
	.set _Z12dot_product2IiLi1EEvPKT_S2_PS0_m.num_vgpr, 21
	.set _Z12dot_product2IiLi1EEvPKT_S2_PS0_m.num_agpr, 0
	.set _Z12dot_product2IiLi1EEvPKT_S2_PS0_m.numbered_sgpr, 18
	.set _Z12dot_product2IiLi1EEvPKT_S2_PS0_m.num_named_barrier, 0
	.set _Z12dot_product2IiLi1EEvPKT_S2_PS0_m.private_seg_size, 0
	.set _Z12dot_product2IiLi1EEvPKT_S2_PS0_m.uses_vcc, 1
	.set _Z12dot_product2IiLi1EEvPKT_S2_PS0_m.uses_flat_scratch, 0
	.set _Z12dot_product2IiLi1EEvPKT_S2_PS0_m.has_dyn_sized_stack, 0
	.set _Z12dot_product2IiLi1EEvPKT_S2_PS0_m.has_recursion, 0
	.set _Z12dot_product2IiLi1EEvPKT_S2_PS0_m.has_indirect_call, 0
	.section	.AMDGPU.csdata,"",@progbits
; Kernel info:
; codeLenInByte = 596
; TotalNumSgprs: 22
; NumVgprs: 21
; ScratchSize: 0
; MemoryBound: 0
; FloatMode: 240
; IeeeMode: 1
; LDSByteSize: 64 bytes/workgroup (compile time only)
; SGPRBlocks: 2
; VGPRBlocks: 5
; NumSGPRsForWavesPerEU: 22
; NumVGPRsForWavesPerEU: 21
; Occupancy: 10
; WaveLimiterHint : 0
; COMPUTE_PGM_RSRC2:SCRATCH_EN: 0
; COMPUTE_PGM_RSRC2:USER_SGPR: 6
; COMPUTE_PGM_RSRC2:TRAP_HANDLER: 0
; COMPUTE_PGM_RSRC2:TGID_X_EN: 1
; COMPUTE_PGM_RSRC2:TGID_Y_EN: 0
; COMPUTE_PGM_RSRC2:TGID_Z_EN: 0
; COMPUTE_PGM_RSRC2:TIDIG_COMP_CNT: 0
	.section	.text._Z11dot_productIjLi1EEvPKT_S2_PS0_m,"axG",@progbits,_Z11dot_productIjLi1EEvPKT_S2_PS0_m,comdat
	.protected	_Z11dot_productIjLi1EEvPKT_S2_PS0_m ; -- Begin function _Z11dot_productIjLi1EEvPKT_S2_PS0_m
	.globl	_Z11dot_productIjLi1EEvPKT_S2_PS0_m
	.p2align	8
	.type	_Z11dot_productIjLi1EEvPKT_S2_PS0_m,@function
_Z11dot_productIjLi1EEvPKT_S2_PS0_m:    ; @_Z11dot_productIjLi1EEvPKT_S2_PS0_m
; %bb.0:
	s_load_dword s7, s[4:5], 0x2c
	s_load_dwordx4 s[0:3], s[4:5], 0x10
	s_add_u32 s14, s4, 32
	s_addc_u32 s15, s5, 0
	v_mov_b32_e32 v1, 0
	s_waitcnt lgkmcnt(0)
	s_and_b32 s16, s7, 0xffff
	v_mov_b32_e32 v2, s6
	v_mad_u64_u32 v[2:3], s[8:9], s16, v2, v[0:1]
	s_mov_b32 s7, 0
	v_cmp_gt_u64_e32 vcc, s[2:3], v[2:3]
	s_and_saveexec_b64 s[12:13], vcc
	s_cbranch_execz .LBB2_4
; %bb.1:
	s_load_dword s17, s[14:15], 0x0
	s_load_dwordx4 s[8:11], s[4:5], 0x0
	s_mov_b32 s5, s7
	v_lshlrev_b64 v[4:5], 4, v[2:3]
	v_mov_b32_e32 v1, 0
	s_waitcnt lgkmcnt(0)
	s_mul_i32 s4, s17, s16
	s_lshl_b64 s[16:17], s[4:5], 4
	s_mov_b64 s[14:15], 0
	v_mov_b32_e32 v6, s9
	v_mov_b32_e32 v7, s11
	s_mov_b32 s5, 0xc0c0602
	s_mov_b32 s9, 0x6020c0c
	;; [unrolled: 1-line block ×8, first 2 shown]
	v_mov_b32_e32 v8, s17
.LBB2_2:                                ; =>This Inner Loop Header: Depth=1
	v_add_co_u32_e32 v17, vcc, s8, v4
	v_addc_co_u32_e32 v18, vcc, v6, v5, vcc
	v_add_co_u32_e32 v19, vcc, s10, v4
	v_addc_co_u32_e32 v20, vcc, v7, v5, vcc
	global_load_dwordx4 v[9:12], v[17:18], off
	global_load_dwordx4 v[13:16], v[19:20], off
	v_add_co_u32_e32 v2, vcc, s4, v2
	v_addc_co_u32_e32 v3, vcc, 0, v3, vcc
	v_add_co_u32_e32 v4, vcc, s16, v4
	v_addc_co_u32_e32 v5, vcc, v5, v8, vcc
	v_cmp_le_u64_e32 vcc, s[2:3], v[2:3]
	s_or_b64 s[14:15], vcc, s[14:15]
	s_waitcnt vmcnt(1)
	v_perm_b32 v17, v9, v10, s5
	v_perm_b32 v18, v12, v11, s9
	v_or_b32_e32 v17, v18, v17
	s_waitcnt vmcnt(0)
	v_perm_b32 v18, v13, v14, s5
	v_perm_b32 v19, v16, v15, s9
	v_or_b32_e32 v18, v19, v18
	v_dot4_u32_u8 v17, v18, v17, 0
	v_perm_b32 v18, v9, v10, s11
	v_perm_b32 v19, v12, v11, s18
	v_or_b32_e32 v18, v19, v18
	v_perm_b32 v19, v13, v14, s11
	v_perm_b32 v20, v16, v15, s18
	v_or_b32_e32 v19, v20, v19
	v_dot4_u32_u8 v18, v19, v18, 0
	v_perm_b32 v19, v9, v10, s19
	v_perm_b32 v20, v12, v11, s20
	;; [unrolled: 1-line block ×4, first 2 shown]
	v_or_b32_e32 v19, v20, v19
	v_perm_b32 v20, v13, v14, s19
	v_perm_b32 v21, v16, v15, s20
	v_or_b32_e32 v9, v10, v9
	v_perm_b32 v10, v13, v14, s21
	v_perm_b32 v11, v16, v15, s22
	v_or_b32_e32 v20, v21, v20
	v_or_b32_e32 v10, v11, v10
	v_dot4_u32_u8 v19, v20, v19, 0
	v_dot4_u32_u8 v9, v10, v9, 0
	v_add_u32_e32 v9, v9, v19
	v_add_u32_e32 v10, v18, v17
	v_add3_u32 v1, v10, v9, v1
	s_andn2_b64 exec, exec, s[14:15]
	s_cbranch_execnz .LBB2_2
; %bb.3:
	s_or_b64 exec, exec, s[14:15]
.LBB2_4:
	s_or_b64 exec, exec, s[12:13]
	v_add_u32_dpp v1, v1, v1 quad_perm:[1,0,3,2] row_mask:0xf bank_mask:0xf bound_ctrl:1
	v_mbcnt_lo_u32_b32 v2, -1, 0
	v_mbcnt_hi_u32_b32 v2, -1, v2
	v_add_u32_dpp v1, v1, v1 quad_perm:[2,3,0,1] row_mask:0xf bank_mask:0xf bound_ctrl:1
	v_cmp_eq_u32_e32 vcc, 0, v2
	s_nop 0
	v_add_u32_dpp v1, v1, v1 row_ror:4 row_mask:0xf bank_mask:0xf bound_ctrl:1
	s_nop 1
	v_add_u32_dpp v1, v1, v1 row_ror:8 row_mask:0xf bank_mask:0xf bound_ctrl:1
	s_nop 1
	v_add_u32_dpp v1, v1, v1 row_bcast:15 row_mask:0xf bank_mask:0xf bound_ctrl:1
	s_nop 1
	v_add_u32_dpp v3, v1, v1 row_bcast:31 row_mask:0xf bank_mask:0xf bound_ctrl:1
	v_lshlrev_b32_e32 v1, 2, v2
	v_or_b32_e32 v4, 0xfc, v1
	ds_bpermute_b32 v3, v4, v3
	s_and_saveexec_b64 s[2:3], vcc
	s_cbranch_execz .LBB2_6
; %bb.5:
	v_lshrrev_b32_e32 v4, 4, v0
	v_and_b32_e32 v4, 60, v4
	s_waitcnt lgkmcnt(0)
	ds_write_b32 v4, v3
.LBB2_6:
	s_or_b64 exec, exec, s[2:3]
	v_cmp_gt_u32_e32 vcc, 64, v0
	s_waitcnt lgkmcnt(0)
	s_barrier
	s_and_saveexec_b64 s[2:3], vcc
	s_cbranch_execnz .LBB2_9
; %bb.7:
	s_or_b64 exec, exec, s[2:3]
	v_cmp_eq_u32_e32 vcc, 0, v0
	s_and_saveexec_b64 s[2:3], vcc
	s_cbranch_execnz .LBB2_10
.LBB2_8:
	s_endpgm
.LBB2_9:
	v_and_b32_e32 v3, 15, v2
	v_lshlrev_b32_e32 v4, 2, v3
	ds_read_b32 v4, v4
	v_cmp_ne_u32_e32 vcc, 15, v3
	v_addc_co_u32_e32 v5, vcc, 0, v2, vcc
	v_lshlrev_b32_e32 v5, 2, v5
	s_waitcnt lgkmcnt(0)
	ds_bpermute_b32 v5, v5, v4
	v_cmp_gt_u32_e32 vcc, 14, v3
	v_cndmask_b32_e64 v6, 0, 2, vcc
	v_add_lshl_u32 v6, v6, v2, 2
	v_cmp_gt_u32_e32 vcc, 12, v3
	s_waitcnt lgkmcnt(0)
	v_add_u32_e32 v4, v5, v4
	ds_bpermute_b32 v5, v6, v4
	v_cndmask_b32_e64 v3, 0, 4, vcc
	v_add_lshl_u32 v2, v3, v2, 2
	v_or_b32_e32 v1, 32, v1
	s_waitcnt lgkmcnt(0)
	v_add_u32_e32 v3, v5, v4
	ds_bpermute_b32 v2, v2, v3
	s_waitcnt lgkmcnt(0)
	v_add_u32_e32 v2, v2, v3
	ds_bpermute_b32 v1, v1, v2
	s_waitcnt lgkmcnt(0)
	v_add_u32_e32 v3, v1, v2
	s_or_b64 exec, exec, s[2:3]
	v_cmp_eq_u32_e32 vcc, 0, v0
	s_and_saveexec_b64 s[2:3], vcc
	s_cbranch_execz .LBB2_8
.LBB2_10:
	s_lshl_b64 s[2:3], s[6:7], 2
	s_add_u32 s0, s0, s2
	s_addc_u32 s1, s1, s3
	v_mov_b32_e32 v0, 0
	global_store_dword v0, v3, s[0:1]
	s_endpgm
	.section	.rodata,"a",@progbits
	.p2align	6, 0x0
	.amdhsa_kernel _Z11dot_productIjLi1EEvPKT_S2_PS0_m
		.amdhsa_group_segment_fixed_size 64
		.amdhsa_private_segment_fixed_size 0
		.amdhsa_kernarg_size 288
		.amdhsa_user_sgpr_count 6
		.amdhsa_user_sgpr_private_segment_buffer 1
		.amdhsa_user_sgpr_dispatch_ptr 0
		.amdhsa_user_sgpr_queue_ptr 0
		.amdhsa_user_sgpr_kernarg_segment_ptr 1
		.amdhsa_user_sgpr_dispatch_id 0
		.amdhsa_user_sgpr_flat_scratch_init 0
		.amdhsa_user_sgpr_private_segment_size 0
		.amdhsa_uses_dynamic_stack 0
		.amdhsa_system_sgpr_private_segment_wavefront_offset 0
		.amdhsa_system_sgpr_workgroup_id_x 1
		.amdhsa_system_sgpr_workgroup_id_y 0
		.amdhsa_system_sgpr_workgroup_id_z 0
		.amdhsa_system_sgpr_workgroup_info 0
		.amdhsa_system_vgpr_workitem_id 0
		.amdhsa_next_free_vgpr 22
		.amdhsa_next_free_sgpr 23
		.amdhsa_reserve_vcc 1
		.amdhsa_reserve_flat_scratch 0
		.amdhsa_float_round_mode_32 0
		.amdhsa_float_round_mode_16_64 0
		.amdhsa_float_denorm_mode_32 3
		.amdhsa_float_denorm_mode_16_64 3
		.amdhsa_dx10_clamp 1
		.amdhsa_ieee_mode 1
		.amdhsa_fp16_overflow 0
		.amdhsa_exception_fp_ieee_invalid_op 0
		.amdhsa_exception_fp_denorm_src 0
		.amdhsa_exception_fp_ieee_div_zero 0
		.amdhsa_exception_fp_ieee_overflow 0
		.amdhsa_exception_fp_ieee_underflow 0
		.amdhsa_exception_fp_ieee_inexact 0
		.amdhsa_exception_int_div_zero 0
	.end_amdhsa_kernel
	.section	.text._Z11dot_productIjLi1EEvPKT_S2_PS0_m,"axG",@progbits,_Z11dot_productIjLi1EEvPKT_S2_PS0_m,comdat
.Lfunc_end2:
	.size	_Z11dot_productIjLi1EEvPKT_S2_PS0_m, .Lfunc_end2-_Z11dot_productIjLi1EEvPKT_S2_PS0_m
                                        ; -- End function
	.set _Z11dot_productIjLi1EEvPKT_S2_PS0_m.num_vgpr, 22
	.set _Z11dot_productIjLi1EEvPKT_S2_PS0_m.num_agpr, 0
	.set _Z11dot_productIjLi1EEvPKT_S2_PS0_m.numbered_sgpr, 23
	.set _Z11dot_productIjLi1EEvPKT_S2_PS0_m.num_named_barrier, 0
	.set _Z11dot_productIjLi1EEvPKT_S2_PS0_m.private_seg_size, 0
	.set _Z11dot_productIjLi1EEvPKT_S2_PS0_m.uses_vcc, 1
	.set _Z11dot_productIjLi1EEvPKT_S2_PS0_m.uses_flat_scratch, 0
	.set _Z11dot_productIjLi1EEvPKT_S2_PS0_m.has_dyn_sized_stack, 0
	.set _Z11dot_productIjLi1EEvPKT_S2_PS0_m.has_recursion, 0
	.set _Z11dot_productIjLi1EEvPKT_S2_PS0_m.has_indirect_call, 0
	.section	.AMDGPU.csdata,"",@progbits
; Kernel info:
; codeLenInByte = 840
; TotalNumSgprs: 27
; NumVgprs: 22
; ScratchSize: 0
; MemoryBound: 0
; FloatMode: 240
; IeeeMode: 1
; LDSByteSize: 64 bytes/workgroup (compile time only)
; SGPRBlocks: 3
; VGPRBlocks: 5
; NumSGPRsForWavesPerEU: 27
; NumVGPRsForWavesPerEU: 22
; Occupancy: 10
; WaveLimiterHint : 0
; COMPUTE_PGM_RSRC2:SCRATCH_EN: 0
; COMPUTE_PGM_RSRC2:USER_SGPR: 6
; COMPUTE_PGM_RSRC2:TRAP_HANDLER: 0
; COMPUTE_PGM_RSRC2:TGID_X_EN: 1
; COMPUTE_PGM_RSRC2:TGID_Y_EN: 0
; COMPUTE_PGM_RSRC2:TGID_Z_EN: 0
; COMPUTE_PGM_RSRC2:TIDIG_COMP_CNT: 0
	.section	.text._Z12dot_product2IjLi1EEvPKT_S2_PS0_m,"axG",@progbits,_Z12dot_product2IjLi1EEvPKT_S2_PS0_m,comdat
	.protected	_Z12dot_product2IjLi1EEvPKT_S2_PS0_m ; -- Begin function _Z12dot_product2IjLi1EEvPKT_S2_PS0_m
	.globl	_Z12dot_product2IjLi1EEvPKT_S2_PS0_m
	.p2align	8
	.type	_Z12dot_product2IjLi1EEvPKT_S2_PS0_m,@function
_Z12dot_product2IjLi1EEvPKT_S2_PS0_m:   ; @_Z12dot_product2IjLi1EEvPKT_S2_PS0_m
; %bb.0:
	s_load_dword s7, s[4:5], 0x2c
	s_load_dwordx4 s[0:3], s[4:5], 0x10
	s_add_u32 s14, s4, 32
	s_addc_u32 s15, s5, 0
	v_mov_b32_e32 v1, 0
	s_waitcnt lgkmcnt(0)
	s_and_b32 s16, s7, 0xffff
	v_mov_b32_e32 v2, s6
	v_mad_u64_u32 v[2:3], s[8:9], s16, v2, v[0:1]
	s_mov_b32 s7, 0
	v_cmp_gt_u64_e32 vcc, s[2:3], v[2:3]
	s_and_saveexec_b64 s[12:13], vcc
	s_cbranch_execz .LBB3_4
; %bb.1:
	s_load_dword s17, s[14:15], 0x0
	s_load_dwordx4 s[8:11], s[4:5], 0x0
	s_mov_b32 s5, s7
	v_lshlrev_b64 v[4:5], 4, v[2:3]
	v_mov_b32_e32 v1, 0
	s_waitcnt lgkmcnt(0)
	s_mul_i32 s4, s17, s16
	s_lshl_b64 s[16:17], s[4:5], 4
	s_mov_b64 s[14:15], 0
	v_mov_b32_e32 v6, s9
	v_mov_b32_e32 v7, s11
	;; [unrolled: 1-line block ×3, first 2 shown]
.LBB3_2:                                ; =>This Inner Loop Header: Depth=1
	v_add_co_u32_e32 v17, vcc, s8, v4
	v_addc_co_u32_e32 v18, vcc, v6, v5, vcc
	v_add_co_u32_e32 v19, vcc, s10, v4
	v_addc_co_u32_e32 v20, vcc, v7, v5, vcc
	global_load_dwordx4 v[9:12], v[17:18], off
	global_load_dwordx4 v[13:16], v[19:20], off
	v_add_co_u32_e32 v2, vcc, s4, v2
	v_addc_co_u32_e32 v3, vcc, 0, v3, vcc
	v_add_co_u32_e32 v4, vcc, s16, v4
	v_addc_co_u32_e32 v5, vcc, v5, v8, vcc
	v_cmp_le_u64_e32 vcc, s[2:3], v[2:3]
	s_or_b64 s[14:15], vcc, s[14:15]
	s_waitcnt vmcnt(0)
	v_dot4_u32_u8 v1, v9, v13, v1
	v_dot4_u32_u8 v1, v10, v14, v1
	;; [unrolled: 1-line block ×4, first 2 shown]
	s_andn2_b64 exec, exec, s[14:15]
	s_cbranch_execnz .LBB3_2
; %bb.3:
	s_or_b64 exec, exec, s[14:15]
.LBB3_4:
	s_or_b64 exec, exec, s[12:13]
	v_add_u32_dpp v1, v1, v1 quad_perm:[1,0,3,2] row_mask:0xf bank_mask:0xf bound_ctrl:1
	v_mbcnt_lo_u32_b32 v2, -1, 0
	v_mbcnt_hi_u32_b32 v2, -1, v2
	v_add_u32_dpp v1, v1, v1 quad_perm:[2,3,0,1] row_mask:0xf bank_mask:0xf bound_ctrl:1
	v_cmp_eq_u32_e32 vcc, 0, v2
	s_nop 0
	v_add_u32_dpp v1, v1, v1 row_ror:4 row_mask:0xf bank_mask:0xf bound_ctrl:1
	s_nop 1
	v_add_u32_dpp v1, v1, v1 row_ror:8 row_mask:0xf bank_mask:0xf bound_ctrl:1
	s_nop 1
	v_add_u32_dpp v1, v1, v1 row_bcast:15 row_mask:0xf bank_mask:0xf bound_ctrl:1
	s_nop 1
	v_add_u32_dpp v3, v1, v1 row_bcast:31 row_mask:0xf bank_mask:0xf bound_ctrl:1
	v_lshlrev_b32_e32 v1, 2, v2
	v_or_b32_e32 v4, 0xfc, v1
	ds_bpermute_b32 v3, v4, v3
	s_and_saveexec_b64 s[2:3], vcc
	s_cbranch_execz .LBB3_6
; %bb.5:
	v_lshrrev_b32_e32 v4, 4, v0
	v_and_b32_e32 v4, 60, v4
	s_waitcnt lgkmcnt(0)
	ds_write_b32 v4, v3
.LBB3_6:
	s_or_b64 exec, exec, s[2:3]
	v_cmp_gt_u32_e32 vcc, 64, v0
	s_waitcnt lgkmcnt(0)
	s_barrier
	s_and_saveexec_b64 s[2:3], vcc
	s_cbranch_execnz .LBB3_9
; %bb.7:
	s_or_b64 exec, exec, s[2:3]
	v_cmp_eq_u32_e32 vcc, 0, v0
	s_and_saveexec_b64 s[2:3], vcc
	s_cbranch_execnz .LBB3_10
.LBB3_8:
	s_endpgm
.LBB3_9:
	v_and_b32_e32 v3, 15, v2
	v_lshlrev_b32_e32 v4, 2, v3
	ds_read_b32 v4, v4
	v_cmp_ne_u32_e32 vcc, 15, v3
	v_addc_co_u32_e32 v5, vcc, 0, v2, vcc
	v_lshlrev_b32_e32 v5, 2, v5
	s_waitcnt lgkmcnt(0)
	ds_bpermute_b32 v5, v5, v4
	v_cmp_gt_u32_e32 vcc, 14, v3
	v_cndmask_b32_e64 v6, 0, 2, vcc
	v_add_lshl_u32 v6, v6, v2, 2
	v_cmp_gt_u32_e32 vcc, 12, v3
	s_waitcnt lgkmcnt(0)
	v_add_u32_e32 v4, v5, v4
	ds_bpermute_b32 v5, v6, v4
	v_cndmask_b32_e64 v3, 0, 4, vcc
	v_add_lshl_u32 v2, v3, v2, 2
	v_or_b32_e32 v1, 32, v1
	s_waitcnt lgkmcnt(0)
	v_add_u32_e32 v3, v5, v4
	ds_bpermute_b32 v2, v2, v3
	s_waitcnt lgkmcnt(0)
	v_add_u32_e32 v2, v2, v3
	ds_bpermute_b32 v1, v1, v2
	s_waitcnt lgkmcnt(0)
	v_add_u32_e32 v3, v1, v2
	s_or_b64 exec, exec, s[2:3]
	v_cmp_eq_u32_e32 vcc, 0, v0
	s_and_saveexec_b64 s[2:3], vcc
	s_cbranch_execz .LBB3_8
.LBB3_10:
	s_lshl_b64 s[2:3], s[6:7], 2
	s_add_u32 s0, s0, s2
	s_addc_u32 s1, s1, s3
	v_mov_b32_e32 v0, 0
	global_store_dword v0, v3, s[0:1]
	s_endpgm
	.section	.rodata,"a",@progbits
	.p2align	6, 0x0
	.amdhsa_kernel _Z12dot_product2IjLi1EEvPKT_S2_PS0_m
		.amdhsa_group_segment_fixed_size 64
		.amdhsa_private_segment_fixed_size 0
		.amdhsa_kernarg_size 288
		.amdhsa_user_sgpr_count 6
		.amdhsa_user_sgpr_private_segment_buffer 1
		.amdhsa_user_sgpr_dispatch_ptr 0
		.amdhsa_user_sgpr_queue_ptr 0
		.amdhsa_user_sgpr_kernarg_segment_ptr 1
		.amdhsa_user_sgpr_dispatch_id 0
		.amdhsa_user_sgpr_flat_scratch_init 0
		.amdhsa_user_sgpr_private_segment_size 0
		.amdhsa_uses_dynamic_stack 0
		.amdhsa_system_sgpr_private_segment_wavefront_offset 0
		.amdhsa_system_sgpr_workgroup_id_x 1
		.amdhsa_system_sgpr_workgroup_id_y 0
		.amdhsa_system_sgpr_workgroup_id_z 0
		.amdhsa_system_sgpr_workgroup_info 0
		.amdhsa_system_vgpr_workitem_id 0
		.amdhsa_next_free_vgpr 21
		.amdhsa_next_free_sgpr 18
		.amdhsa_reserve_vcc 1
		.amdhsa_reserve_flat_scratch 0
		.amdhsa_float_round_mode_32 0
		.amdhsa_float_round_mode_16_64 0
		.amdhsa_float_denorm_mode_32 3
		.amdhsa_float_denorm_mode_16_64 3
		.amdhsa_dx10_clamp 1
		.amdhsa_ieee_mode 1
		.amdhsa_fp16_overflow 0
		.amdhsa_exception_fp_ieee_invalid_op 0
		.amdhsa_exception_fp_denorm_src 0
		.amdhsa_exception_fp_ieee_div_zero 0
		.amdhsa_exception_fp_ieee_overflow 0
		.amdhsa_exception_fp_ieee_underflow 0
		.amdhsa_exception_fp_ieee_inexact 0
		.amdhsa_exception_int_div_zero 0
	.end_amdhsa_kernel
	.section	.text._Z12dot_product2IjLi1EEvPKT_S2_PS0_m,"axG",@progbits,_Z12dot_product2IjLi1EEvPKT_S2_PS0_m,comdat
.Lfunc_end3:
	.size	_Z12dot_product2IjLi1EEvPKT_S2_PS0_m, .Lfunc_end3-_Z12dot_product2IjLi1EEvPKT_S2_PS0_m
                                        ; -- End function
	.set _Z12dot_product2IjLi1EEvPKT_S2_PS0_m.num_vgpr, 21
	.set _Z12dot_product2IjLi1EEvPKT_S2_PS0_m.num_agpr, 0
	.set _Z12dot_product2IjLi1EEvPKT_S2_PS0_m.numbered_sgpr, 18
	.set _Z12dot_product2IjLi1EEvPKT_S2_PS0_m.num_named_barrier, 0
	.set _Z12dot_product2IjLi1EEvPKT_S2_PS0_m.private_seg_size, 0
	.set _Z12dot_product2IjLi1EEvPKT_S2_PS0_m.uses_vcc, 1
	.set _Z12dot_product2IjLi1EEvPKT_S2_PS0_m.uses_flat_scratch, 0
	.set _Z12dot_product2IjLi1EEvPKT_S2_PS0_m.has_dyn_sized_stack, 0
	.set _Z12dot_product2IjLi1EEvPKT_S2_PS0_m.has_recursion, 0
	.set _Z12dot_product2IjLi1EEvPKT_S2_PS0_m.has_indirect_call, 0
	.section	.AMDGPU.csdata,"",@progbits
; Kernel info:
; codeLenInByte = 596
; TotalNumSgprs: 22
; NumVgprs: 21
; ScratchSize: 0
; MemoryBound: 0
; FloatMode: 240
; IeeeMode: 1
; LDSByteSize: 64 bytes/workgroup (compile time only)
; SGPRBlocks: 2
; VGPRBlocks: 5
; NumSGPRsForWavesPerEU: 22
; NumVGPRsForWavesPerEU: 21
; Occupancy: 10
; WaveLimiterHint : 0
; COMPUTE_PGM_RSRC2:SCRATCH_EN: 0
; COMPUTE_PGM_RSRC2:USER_SGPR: 6
; COMPUTE_PGM_RSRC2:TRAP_HANDLER: 0
; COMPUTE_PGM_RSRC2:TGID_X_EN: 1
; COMPUTE_PGM_RSRC2:TGID_Y_EN: 0
; COMPUTE_PGM_RSRC2:TGID_Z_EN: 0
; COMPUTE_PGM_RSRC2:TIDIG_COMP_CNT: 0
	.section	.AMDGPU.gpr_maximums,"",@progbits
	.set amdgpu.max_num_vgpr, 0
	.set amdgpu.max_num_agpr, 0
	.set amdgpu.max_num_sgpr, 0
	.section	.AMDGPU.csdata,"",@progbits
	.type	__hip_cuid_a8093ea802588254,@object ; @__hip_cuid_a8093ea802588254
	.section	.bss,"aw",@nobits
	.globl	__hip_cuid_a8093ea802588254
__hip_cuid_a8093ea802588254:
	.byte	0                               ; 0x0
	.size	__hip_cuid_a8093ea802588254, 1

	.ident	"AMD clang version 22.0.0git (https://github.com/RadeonOpenCompute/llvm-project roc-7.2.4 26084 f58b06dce1f9c15707c5f808fd002e18c2accf7e)"
	.section	".note.GNU-stack","",@progbits
	.addrsig
	.addrsig_sym __hip_cuid_a8093ea802588254
	.amdgpu_metadata
---
amdhsa.kernels:
  - .args:
      - .actual_access:  read_only
        .address_space:  global
        .offset:         0
        .size:           8
        .value_kind:     global_buffer
      - .actual_access:  read_only
        .address_space:  global
        .offset:         8
        .size:           8
        .value_kind:     global_buffer
      - .actual_access:  write_only
        .address_space:  global
        .offset:         16
        .size:           8
        .value_kind:     global_buffer
      - .offset:         24
        .size:           8
        .value_kind:     by_value
      - .offset:         32
        .size:           4
        .value_kind:     hidden_block_count_x
      - .offset:         36
        .size:           4
        .value_kind:     hidden_block_count_y
      - .offset:         40
        .size:           4
        .value_kind:     hidden_block_count_z
      - .offset:         44
        .size:           2
        .value_kind:     hidden_group_size_x
      - .offset:         46
        .size:           2
        .value_kind:     hidden_group_size_y
      - .offset:         48
        .size:           2
        .value_kind:     hidden_group_size_z
      - .offset:         50
        .size:           2
        .value_kind:     hidden_remainder_x
      - .offset:         52
        .size:           2
        .value_kind:     hidden_remainder_y
      - .offset:         54
        .size:           2
        .value_kind:     hidden_remainder_z
      - .offset:         72
        .size:           8
        .value_kind:     hidden_global_offset_x
      - .offset:         80
        .size:           8
        .value_kind:     hidden_global_offset_y
      - .offset:         88
        .size:           8
        .value_kind:     hidden_global_offset_z
      - .offset:         96
        .size:           2
        .value_kind:     hidden_grid_dims
    .group_segment_fixed_size: 64
    .kernarg_segment_align: 8
    .kernarg_segment_size: 288
    .language:       OpenCL C
    .language_version:
      - 2
      - 0
    .max_flat_workgroup_size: 1024
    .name:           _Z11dot_productIiLi1EEvPKT_S2_PS0_m
    .private_segment_fixed_size: 0
    .sgpr_count:     27
    .sgpr_spill_count: 0
    .symbol:         _Z11dot_productIiLi1EEvPKT_S2_PS0_m.kd
    .uniform_work_group_size: 1
    .uses_dynamic_stack: false
    .vgpr_count:     22
    .vgpr_spill_count: 0
    .wavefront_size: 64
  - .args:
      - .actual_access:  read_only
        .address_space:  global
        .offset:         0
        .size:           8
        .value_kind:     global_buffer
      - .actual_access:  read_only
        .address_space:  global
        .offset:         8
        .size:           8
        .value_kind:     global_buffer
      - .actual_access:  write_only
        .address_space:  global
        .offset:         16
        .size:           8
        .value_kind:     global_buffer
      - .offset:         24
        .size:           8
        .value_kind:     by_value
      - .offset:         32
        .size:           4
        .value_kind:     hidden_block_count_x
      - .offset:         36
        .size:           4
        .value_kind:     hidden_block_count_y
      - .offset:         40
        .size:           4
        .value_kind:     hidden_block_count_z
      - .offset:         44
        .size:           2
        .value_kind:     hidden_group_size_x
      - .offset:         46
        .size:           2
        .value_kind:     hidden_group_size_y
      - .offset:         48
        .size:           2
        .value_kind:     hidden_group_size_z
      - .offset:         50
        .size:           2
        .value_kind:     hidden_remainder_x
      - .offset:         52
        .size:           2
        .value_kind:     hidden_remainder_y
      - .offset:         54
        .size:           2
        .value_kind:     hidden_remainder_z
      - .offset:         72
        .size:           8
        .value_kind:     hidden_global_offset_x
      - .offset:         80
        .size:           8
        .value_kind:     hidden_global_offset_y
      - .offset:         88
        .size:           8
        .value_kind:     hidden_global_offset_z
      - .offset:         96
        .size:           2
        .value_kind:     hidden_grid_dims
    .group_segment_fixed_size: 64
    .kernarg_segment_align: 8
    .kernarg_segment_size: 288
    .language:       OpenCL C
    .language_version:
      - 2
      - 0
    .max_flat_workgroup_size: 1024
    .name:           _Z12dot_product2IiLi1EEvPKT_S2_PS0_m
    .private_segment_fixed_size: 0
    .sgpr_count:     22
    .sgpr_spill_count: 0
    .symbol:         _Z12dot_product2IiLi1EEvPKT_S2_PS0_m.kd
    .uniform_work_group_size: 1
    .uses_dynamic_stack: false
    .vgpr_count:     21
    .vgpr_spill_count: 0
    .wavefront_size: 64
  - .args:
      - .actual_access:  read_only
        .address_space:  global
        .offset:         0
        .size:           8
        .value_kind:     global_buffer
      - .actual_access:  read_only
        .address_space:  global
        .offset:         8
        .size:           8
        .value_kind:     global_buffer
      - .actual_access:  write_only
        .address_space:  global
        .offset:         16
        .size:           8
        .value_kind:     global_buffer
      - .offset:         24
        .size:           8
        .value_kind:     by_value
      - .offset:         32
        .size:           4
        .value_kind:     hidden_block_count_x
      - .offset:         36
        .size:           4
        .value_kind:     hidden_block_count_y
      - .offset:         40
        .size:           4
        .value_kind:     hidden_block_count_z
      - .offset:         44
        .size:           2
        .value_kind:     hidden_group_size_x
      - .offset:         46
        .size:           2
        .value_kind:     hidden_group_size_y
      - .offset:         48
        .size:           2
        .value_kind:     hidden_group_size_z
      - .offset:         50
        .size:           2
        .value_kind:     hidden_remainder_x
      - .offset:         52
        .size:           2
        .value_kind:     hidden_remainder_y
      - .offset:         54
        .size:           2
        .value_kind:     hidden_remainder_z
      - .offset:         72
        .size:           8
        .value_kind:     hidden_global_offset_x
      - .offset:         80
        .size:           8
        .value_kind:     hidden_global_offset_y
      - .offset:         88
        .size:           8
        .value_kind:     hidden_global_offset_z
      - .offset:         96
        .size:           2
        .value_kind:     hidden_grid_dims
    .group_segment_fixed_size: 64
    .kernarg_segment_align: 8
    .kernarg_segment_size: 288
    .language:       OpenCL C
    .language_version:
      - 2
      - 0
    .max_flat_workgroup_size: 1024
    .name:           _Z11dot_productIjLi1EEvPKT_S2_PS0_m
    .private_segment_fixed_size: 0
    .sgpr_count:     27
    .sgpr_spill_count: 0
    .symbol:         _Z11dot_productIjLi1EEvPKT_S2_PS0_m.kd
    .uniform_work_group_size: 1
    .uses_dynamic_stack: false
    .vgpr_count:     22
    .vgpr_spill_count: 0
    .wavefront_size: 64
  - .args:
      - .actual_access:  read_only
        .address_space:  global
        .offset:         0
        .size:           8
        .value_kind:     global_buffer
      - .actual_access:  read_only
        .address_space:  global
        .offset:         8
        .size:           8
        .value_kind:     global_buffer
      - .actual_access:  write_only
        .address_space:  global
        .offset:         16
        .size:           8
        .value_kind:     global_buffer
      - .offset:         24
        .size:           8
        .value_kind:     by_value
      - .offset:         32
        .size:           4
        .value_kind:     hidden_block_count_x
      - .offset:         36
        .size:           4
        .value_kind:     hidden_block_count_y
      - .offset:         40
        .size:           4
        .value_kind:     hidden_block_count_z
      - .offset:         44
        .size:           2
        .value_kind:     hidden_group_size_x
      - .offset:         46
        .size:           2
        .value_kind:     hidden_group_size_y
      - .offset:         48
        .size:           2
        .value_kind:     hidden_group_size_z
      - .offset:         50
        .size:           2
        .value_kind:     hidden_remainder_x
      - .offset:         52
        .size:           2
        .value_kind:     hidden_remainder_y
      - .offset:         54
        .size:           2
        .value_kind:     hidden_remainder_z
      - .offset:         72
        .size:           8
        .value_kind:     hidden_global_offset_x
      - .offset:         80
        .size:           8
        .value_kind:     hidden_global_offset_y
      - .offset:         88
        .size:           8
        .value_kind:     hidden_global_offset_z
      - .offset:         96
        .size:           2
        .value_kind:     hidden_grid_dims
    .group_segment_fixed_size: 64
    .kernarg_segment_align: 8
    .kernarg_segment_size: 288
    .language:       OpenCL C
    .language_version:
      - 2
      - 0
    .max_flat_workgroup_size: 1024
    .name:           _Z12dot_product2IjLi1EEvPKT_S2_PS0_m
    .private_segment_fixed_size: 0
    .sgpr_count:     22
    .sgpr_spill_count: 0
    .symbol:         _Z12dot_product2IjLi1EEvPKT_S2_PS0_m.kd
    .uniform_work_group_size: 1
    .uses_dynamic_stack: false
    .vgpr_count:     21
    .vgpr_spill_count: 0
    .wavefront_size: 64
amdhsa.target:   amdgcn-amd-amdhsa--gfx906
amdhsa.version:
  - 1
  - 2
...

	.end_amdgpu_metadata
